;; amdgpu-corpus repo=GPUOpen-LibrariesAndSDKs/Orochi kind=compiled arch=gfx1201 opt=O3
	.amdgcn_target "amdgcn-amd-amdhsa--gfx1201"
	.amdhsa_code_object_version 6
	.text
	.protected	texture_test            ; -- Begin function texture_test
	.globl	texture_test
	.p2align	8
	.type	texture_test,@function
texture_test:                           ; @texture_test
; %bb.0:
	s_clause 0x1
	s_load_b32 s4, s[0:1], 0x24
	s_load_b64 s[2:3], s[0:1], 0x10
	v_and_b32_e32 v1, 0x3ff, v0
	v_bfe_u32 v0, v0, 10, 10
	s_wait_kmcnt 0x0
	s_lshr_b32 s5, s4, 16
	s_and_b32 s4, s4, 0xffff
	s_delay_alu instid0(VALU_DEP_1) | instskip(SKIP_1) | instid1(VALU_DEP_1)
	v_mad_co_u64_u32 v[3:4], null, ttmp7, s5, v[0:1]
	v_mad_co_u64_u32 v[5:6], null, ttmp9, s4, v[1:2]
	v_cmp_gt_i32_e32 vcc_lo, s2, v5
	s_delay_alu instid0(VALU_DEP_3)
	v_cmp_gt_i32_e64 s2, s3, v3
	s_and_b32 s2, vcc_lo, s2
	s_wait_alu 0xfffe
	s_and_saveexec_b32 s3, s2
	s_cbranch_execz .LBB0_9
; %bb.1:
	s_load_b128 s[0:3], s[0:1], 0x0
	v_cvt_f32_i32_e32 v0, v3
	v_cvt_f32_i32_e32 v1, v5
	s_wait_kmcnt 0x0
	s_clause 0x2
	s_load_b128 s[12:15], s[0:1], 0x30
	s_load_b256 s[4:11], s[0:1], 0x0
	s_load_b32 s0, s[0:1], 0x28
	v_lshlrev_b32_e32 v5, 2, v5
	s_wait_kmcnt 0x0
	s_bitcmp0_b32 s14, 20
	s_cselect_b32 vcc_lo, -1, 0
	s_bfe_u32 s1, s6, 0xe000e
	s_and_b32 s16, s12, 0x8000
	s_wait_alu 0xfffe
	s_add_co_i32 s1, s1, 1
	s_cvt_f32_u32 s0, s0
	s_wait_alu 0xfffe
	s_cvt_f32_u32 s1, s1
	s_cmp_eq_u32 s16, 0
	s_cselect_b32 s0, s0, 1.0
	s_wait_alu 0xfffe
	s_cselect_b32 s1, s1, 1.0
	v_mul_f32_e32 v4, s0, v1
	s_wait_alu 0xfffe
	v_mul_f32_e32 v2, s1, v0
	v_s_rcp_f32 s1, s1
	v_s_rcp_f32 s0, s0
	v_floor_f32_e32 v4, v4
	s_delay_alu instid0(VALU_DEP_2)
	v_floor_f32_e32 v2, v2
	s_wait_alu 0xf1ff
	s_delay_alu instid0(TRANS32_DEP_1) | instid1(VALU_DEP_2)
	v_mul_f32_e32 v4, s0, v4
	s_delay_alu instid0(TRANS32_DEP_2) | instid1(VALU_DEP_2)
	v_mul_f32_e32 v2, s1, v2
	s_load_b64 s[0:1], s[2:3], 0x20
	s_delay_alu instid0(VALU_DEP_1)
	v_dual_cndmask_b32 v1, v1, v4 :: v_dual_cndmask_b32 v0, v0, v2
	image_sample_lz v[0:2], [v1, v0], s[4:11], s[12:15] dmask:0x7 dim:SQ_RSRC_IMG_2D
	s_mov_b32 s4, 0
	s_wait_kmcnt 0x0
	s_cmp_lg_u32 s0, 4
	s_cbranch_scc0 .LBB0_3
; %bb.2:
	s_ashr_i32 s7, s0, 31
	s_mov_b32 s6, s0
	s_getpc_b64 s[8:9]
	s_sext_i32_i16 s9, s9
	s_add_co_u32 s8, s8, _ZZL17__hipGetPixelAddriiiE9FormatLUT@rel32@lo+8
	s_add_co_ci_u32 s9, s9, _ZZL17__hipGetPixelAddriiiE9FormatLUT@rel32@hi+16
	s_lshl_b64 s[6:7], s[6:7], 2
	s_delay_alu instid0(SALU_CYCLE_1)
	s_add_nc_u64 s[6:7], s[8:9], s[6:7]
	s_load_b32 s0, s[6:7], 0x0
	s_wait_kmcnt 0x0
	v_ashrrev_i32_e32 v4, s0, v5
	s_and_not1_b32 vcc_lo, exec_lo, s4
	s_wait_alu 0xfffe
	s_cbranch_vccz .LBB0_4
	s_branch .LBB0_5
.LBB0_3:
                                        ; implicit-def: $vgpr4
.LBB0_4:
	v_mul_hi_i32 v4, 0x55555556, v5
	s_delay_alu instid0(VALU_DEP_1) | instskip(NEXT) | instid1(VALU_DEP_1)
	v_lshrrev_b32_e32 v5, 31, v4
	v_add_nc_u32_e32 v4, v4, v5
.LBB0_5:
	s_lshl_b64 s[4:5], 1, s1
	s_mov_b32 s5, 0
	s_wait_alu 0xfffe
	s_and_b32 s4, s4, 0x1050
	s_wait_alu 0xfffe
	s_cmp_eq_u64 s[4:5], 0
	s_cbranch_scc1 .LBB0_10
; %bb.6:
	v_mul_hi_i32 v5, 0x55555556, v4
	s_delay_alu instid0(VALU_DEP_1) | instskip(NEXT) | instid1(VALU_DEP_1)
	v_lshrrev_b32_e32 v6, 31, v5
	v_add_nc_u32_e32 v5, v5, v6
	s_and_not1_b32 vcc_lo, exec_lo, s5
	s_wait_alu 0xfffe
	s_cbranch_vccnz .LBB0_8
.LBB0_7:
	s_ashr_i32 s5, s1, 31
	s_mov_b32 s4, s1
	s_getpc_b64 s[6:7]
	s_sext_i32_i16 s7, s7
	s_add_co_u32 s6, s6, _ZZL17__hipGetPixelAddriiiE8OrderLUT@rel32@lo+8
	s_add_co_ci_u32 s7, s7, _ZZL17__hipGetPixelAddriiiE8OrderLUT@rel32@hi+16
	s_wait_alu 0xfffe
	s_lshl_b64 s[0:1], s[4:5], 2
	s_wait_alu 0xfffe
	s_add_nc_u64 s[0:1], s[6:7], s[0:1]
	s_load_b32 s0, s[0:1], 0x0
	s_wait_kmcnt 0x0
	v_ashrrev_i32_e32 v5, s0, v4
.LBB0_8:
	v_mov_b32_e32 v4, 0xc2200000
	s_mov_b32 s0, 0x437f0000
	v_mov_b32_e32 v9, 0xff
	s_wait_samplecnt 0x0
	s_wait_alu 0xfffe
	v_fmaak_f32 v0, s0, v0, 0x42200000
	s_load_b256 s[0:7], s[2:3], 0x0
	v_fmamk_f32 v1, v1, 0x437f0000, v4
	v_fmac_f32_e32 v4, 0x437f0000, v2
	s_delay_alu instid0(VALU_DEP_3) | instskip(NEXT) | instid1(VALU_DEP_3)
	v_cvt_i32_f32_e32 v0, v0
	v_cvt_i32_f32_e32 v1, v1
	s_delay_alu instid0(VALU_DEP_3) | instskip(NEXT) | instid1(VALU_DEP_3)
	v_cvt_i32_f32_e32 v2, v4
	v_min_i32_e32 v0, 0xff, v0
	s_delay_alu instid0(VALU_DEP_3) | instskip(NEXT) | instid1(VALU_DEP_3)
	v_max_i32_e32 v1, 0, v1
	v_max_i32_e32 v2, 0, v2
	s_delay_alu instid0(VALU_DEP_3) | instskip(NEXT) | instid1(VALU_DEP_3)
	v_and_b32_e32 v6, 0xff, v0
	v_and_b32_e32 v7, 0xff, v1
	s_delay_alu instid0(VALU_DEP_3)
	v_and_b32_e32 v8, 0xff, v2
	s_wait_kmcnt 0x0
	image_store v[6:9], [v5, v3], s[0:7] dmask:0xf dim:SQ_RSRC_IMG_2D
.LBB0_9:
	s_endpgm
.LBB0_10:
                                        ; implicit-def: $vgpr5
	s_branch .LBB0_7
	.section	.rodata,"a",@progbits
	.p2align	6, 0x0
	.amdhsa_kernel texture_test
		.amdhsa_group_segment_fixed_size 0
		.amdhsa_private_segment_fixed_size 0
		.amdhsa_kernarg_size 280
		.amdhsa_user_sgpr_count 2
		.amdhsa_user_sgpr_dispatch_ptr 0
		.amdhsa_user_sgpr_queue_ptr 0
		.amdhsa_user_sgpr_kernarg_segment_ptr 1
		.amdhsa_user_sgpr_dispatch_id 0
		.amdhsa_user_sgpr_private_segment_size 0
		.amdhsa_wavefront_size32 1
		.amdhsa_uses_dynamic_stack 0
		.amdhsa_enable_private_segment 0
		.amdhsa_system_sgpr_workgroup_id_x 1
		.amdhsa_system_sgpr_workgroup_id_y 1
		.amdhsa_system_sgpr_workgroup_id_z 0
		.amdhsa_system_sgpr_workgroup_info 0
		.amdhsa_system_vgpr_workitem_id 1
		.amdhsa_next_free_vgpr 10
		.amdhsa_next_free_sgpr 17
		.amdhsa_reserve_vcc 1
		.amdhsa_float_round_mode_32 0
		.amdhsa_float_round_mode_16_64 0
		.amdhsa_float_denorm_mode_32 3
		.amdhsa_float_denorm_mode_16_64 3
		.amdhsa_fp16_overflow 0
		.amdhsa_workgroup_processor_mode 1
		.amdhsa_memory_ordered 1
		.amdhsa_forward_progress 1
		.amdhsa_inst_pref_size 6
		.amdhsa_round_robin_scheduling 0
		.amdhsa_exception_fp_ieee_invalid_op 0
		.amdhsa_exception_fp_denorm_src 0
		.amdhsa_exception_fp_ieee_div_zero 0
		.amdhsa_exception_fp_ieee_overflow 0
		.amdhsa_exception_fp_ieee_underflow 0
		.amdhsa_exception_fp_ieee_inexact 0
		.amdhsa_exception_int_div_zero 0
	.end_amdhsa_kernel
	.text
.Lfunc_end0:
	.size	texture_test, .Lfunc_end0-texture_test
                                        ; -- End function
	.set texture_test.num_vgpr, 10
	.set texture_test.num_agpr, 0
	.set texture_test.numbered_sgpr, 17
	.set texture_test.num_named_barrier, 0
	.set texture_test.private_seg_size, 0
	.set texture_test.uses_vcc, 1
	.set texture_test.uses_flat_scratch, 0
	.set texture_test.has_dyn_sized_stack, 0
	.set texture_test.has_recursion, 0
	.set texture_test.has_indirect_call, 0
	.section	.AMDGPU.csdata,"",@progbits
; Kernel info:
; codeLenInByte = 720
; TotalNumSgprs: 19
; NumVgprs: 10
; ScratchSize: 0
; MemoryBound: 0
; FloatMode: 240
; IeeeMode: 1
; LDSByteSize: 0 bytes/workgroup (compile time only)
; SGPRBlocks: 0
; VGPRBlocks: 1
; NumSGPRsForWavesPerEU: 19
; NumVGPRsForWavesPerEU: 10
; Occupancy: 16
; WaveLimiterHint : 0
; COMPUTE_PGM_RSRC2:SCRATCH_EN: 0
; COMPUTE_PGM_RSRC2:USER_SGPR: 2
; COMPUTE_PGM_RSRC2:TRAP_HANDLER: 0
; COMPUTE_PGM_RSRC2:TGID_X_EN: 1
; COMPUTE_PGM_RSRC2:TGID_Y_EN: 1
; COMPUTE_PGM_RSRC2:TGID_Z_EN: 0
; COMPUTE_PGM_RSRC2:TIDIG_COMP_CNT: 1
	.text
	.p2alignl 7, 3214868480
	.fill 96, 4, 3214868480
	.section	.AMDGPU.gpr_maximums,"",@progbits
	.set amdgpu.max_num_vgpr, 0
	.set amdgpu.max_num_agpr, 0
	.set amdgpu.max_num_sgpr, 0
	.text
	.type	_ZZL17__hipGetPixelAddriiiE9FormatLUT,@object ; @_ZZL17__hipGetPixelAddriiiE9FormatLUT
	.section	.rodata,"a",@progbits
	.p2align	4, 0x0
_ZZL17__hipGetPixelAddriiiE9FormatLUT:
	.long	0                               ; 0x0
	.long	1                               ; 0x1
	;; [unrolled: 1-line block ×16, first 2 shown]
	.size	_ZZL17__hipGetPixelAddriiiE9FormatLUT, 64

	.type	_ZZL17__hipGetPixelAddriiiE8OrderLUT,@object ; @_ZZL17__hipGetPixelAddriiiE8OrderLUT
	.p2align	4, 0x0
_ZZL17__hipGetPixelAddriiiE8OrderLUT:
	.long	0                               ; 0x0
	.long	0                               ; 0x0
	;; [unrolled: 1-line block ×20, first 2 shown]
	.size	_ZZL17__hipGetPixelAddriiiE8OrderLUT, 80

	.type	__hip_cuid_e23062d826570317,@object ; @__hip_cuid_e23062d826570317
	.section	.bss,"aw",@nobits
	.globl	__hip_cuid_e23062d826570317
__hip_cuid_e23062d826570317:
	.byte	0                               ; 0x0
	.size	__hip_cuid_e23062d826570317, 1

	.ident	"AMD clang version 22.0.0git (https://github.com/RadeonOpenCompute/llvm-project roc-7.2.4 26084 f58b06dce1f9c15707c5f808fd002e18c2accf7e)"
	.section	".note.GNU-stack","",@progbits
	.addrsig
	.addrsig_sym __hip_cuid_e23062d826570317
	.amdgpu_metadata
---
amdhsa.kernels:
  - .args:
      - .address_space:  global
        .offset:         0
        .size:           8
        .value_kind:     global_buffer
      - .address_space:  global
        .offset:         8
        .size:           8
        .value_kind:     global_buffer
      - .offset:         16
        .size:           4
        .value_kind:     by_value
      - .offset:         20
        .size:           4
        .value_kind:     by_value
      - .offset:         24
        .size:           4
        .value_kind:     hidden_block_count_x
      - .offset:         28
        .size:           4
        .value_kind:     hidden_block_count_y
      - .offset:         32
        .size:           4
        .value_kind:     hidden_block_count_z
      - .offset:         36
        .size:           2
        .value_kind:     hidden_group_size_x
      - .offset:         38
        .size:           2
        .value_kind:     hidden_group_size_y
      - .offset:         40
        .size:           2
        .value_kind:     hidden_group_size_z
      - .offset:         42
        .size:           2
        .value_kind:     hidden_remainder_x
      - .offset:         44
        .size:           2
        .value_kind:     hidden_remainder_y
      - .offset:         46
        .size:           2
        .value_kind:     hidden_remainder_z
      - .offset:         64
        .size:           8
        .value_kind:     hidden_global_offset_x
      - .offset:         72
        .size:           8
        .value_kind:     hidden_global_offset_y
      - .offset:         80
        .size:           8
        .value_kind:     hidden_global_offset_z
      - .offset:         88
        .size:           2
        .value_kind:     hidden_grid_dims
    .group_segment_fixed_size: 0
    .kernarg_segment_align: 8
    .kernarg_segment_size: 280
    .language:       OpenCL C
    .language_version:
      - 2
      - 0
    .max_flat_workgroup_size: 1024
    .name:           texture_test
    .private_segment_fixed_size: 0
    .sgpr_count:     19
    .sgpr_spill_count: 0
    .symbol:         texture_test.kd
    .uniform_work_group_size: 1
    .uses_dynamic_stack: false
    .vgpr_count:     10
    .vgpr_spill_count: 0
    .wavefront_size: 32
    .workgroup_processor_mode: 1
amdhsa.target:   amdgcn-amd-amdhsa--gfx1201
amdhsa.version:
  - 1
  - 2
...

	.end_amdgpu_metadata
